;; amdgpu-corpus repo=ROCm/rocFFT kind=compiled arch=gfx1030 opt=O3
	.text
	.amdgcn_target "amdgcn-amd-amdhsa--gfx1030"
	.amdhsa_code_object_version 6
	.protected	fft_rtc_back_len1134_factors_2_3_3_3_3_7_wgs_126_tpt_126_half_ip_CI_unitstride_sbrr_dirReg ; -- Begin function fft_rtc_back_len1134_factors_2_3_3_3_3_7_wgs_126_tpt_126_half_ip_CI_unitstride_sbrr_dirReg
	.globl	fft_rtc_back_len1134_factors_2_3_3_3_3_7_wgs_126_tpt_126_half_ip_CI_unitstride_sbrr_dirReg
	.p2align	8
	.type	fft_rtc_back_len1134_factors_2_3_3_3_3_7_wgs_126_tpt_126_half_ip_CI_unitstride_sbrr_dirReg,@function
fft_rtc_back_len1134_factors_2_3_3_3_3_7_wgs_126_tpt_126_half_ip_CI_unitstride_sbrr_dirReg: ; @fft_rtc_back_len1134_factors_2_3_3_3_3_7_wgs_126_tpt_126_half_ip_CI_unitstride_sbrr_dirReg
; %bb.0:
	s_clause 0x2
	s_load_dwordx4 s[8:11], s[4:5], 0x0
	s_load_dwordx2 s[2:3], s[4:5], 0x50
	s_load_dwordx2 s[12:13], s[4:5], 0x18
	v_mul_u32_u24_e32 v1, 0x209, v0
	v_mov_b32_e32 v3, 0
	v_add_nc_u32_sdwa v5, s6, v1 dst_sel:DWORD dst_unused:UNUSED_PAD src0_sel:DWORD src1_sel:WORD_1
	v_mov_b32_e32 v1, 0
	v_mov_b32_e32 v6, v3
	v_mov_b32_e32 v2, 0
	s_waitcnt lgkmcnt(0)
	v_cmp_lt_u64_e64 s0, s[10:11], 2
	s_and_b32 vcc_lo, exec_lo, s0
	s_cbranch_vccnz .LBB0_8
; %bb.1:
	s_load_dwordx2 s[0:1], s[4:5], 0x10
	v_mov_b32_e32 v1, 0
	s_add_u32 s6, s12, 8
	v_mov_b32_e32 v2, 0
	s_addc_u32 s7, s13, 0
	s_mov_b64 s[16:17], 1
	s_waitcnt lgkmcnt(0)
	s_add_u32 s14, s0, 8
	s_addc_u32 s15, s1, 0
.LBB0_2:                                ; =>This Inner Loop Header: Depth=1
	s_load_dwordx2 s[18:19], s[14:15], 0x0
                                        ; implicit-def: $vgpr7_vgpr8
	s_mov_b32 s0, exec_lo
	s_waitcnt lgkmcnt(0)
	v_or_b32_e32 v4, s19, v6
	v_cmpx_ne_u64_e32 0, v[3:4]
	s_xor_b32 s1, exec_lo, s0
	s_cbranch_execz .LBB0_4
; %bb.3:                                ;   in Loop: Header=BB0_2 Depth=1
	v_cvt_f32_u32_e32 v4, s18
	v_cvt_f32_u32_e32 v7, s19
	s_sub_u32 s0, 0, s18
	s_subb_u32 s20, 0, s19
	v_fmac_f32_e32 v4, 0x4f800000, v7
	v_rcp_f32_e32 v4, v4
	v_mul_f32_e32 v4, 0x5f7ffffc, v4
	v_mul_f32_e32 v7, 0x2f800000, v4
	v_trunc_f32_e32 v7, v7
	v_fmac_f32_e32 v4, 0xcf800000, v7
	v_cvt_u32_f32_e32 v7, v7
	v_cvt_u32_f32_e32 v4, v4
	v_mul_lo_u32 v8, s0, v7
	v_mul_hi_u32 v9, s0, v4
	v_mul_lo_u32 v10, s20, v4
	v_add_nc_u32_e32 v8, v9, v8
	v_mul_lo_u32 v9, s0, v4
	v_add_nc_u32_e32 v8, v8, v10
	v_mul_hi_u32 v10, v4, v9
	v_mul_lo_u32 v11, v4, v8
	v_mul_hi_u32 v12, v4, v8
	v_mul_hi_u32 v13, v7, v9
	v_mul_lo_u32 v9, v7, v9
	v_mul_hi_u32 v14, v7, v8
	v_mul_lo_u32 v8, v7, v8
	v_add_co_u32 v10, vcc_lo, v10, v11
	v_add_co_ci_u32_e32 v11, vcc_lo, 0, v12, vcc_lo
	v_add_co_u32 v9, vcc_lo, v10, v9
	v_add_co_ci_u32_e32 v9, vcc_lo, v11, v13, vcc_lo
	v_add_co_ci_u32_e32 v10, vcc_lo, 0, v14, vcc_lo
	v_add_co_u32 v8, vcc_lo, v9, v8
	v_add_co_ci_u32_e32 v9, vcc_lo, 0, v10, vcc_lo
	v_add_co_u32 v4, vcc_lo, v4, v8
	v_add_co_ci_u32_e32 v7, vcc_lo, v7, v9, vcc_lo
	v_mul_hi_u32 v8, s0, v4
	v_mul_lo_u32 v10, s20, v4
	v_mul_lo_u32 v9, s0, v7
	v_add_nc_u32_e32 v8, v8, v9
	v_mul_lo_u32 v9, s0, v4
	v_add_nc_u32_e32 v8, v8, v10
	v_mul_hi_u32 v10, v4, v9
	v_mul_lo_u32 v11, v4, v8
	v_mul_hi_u32 v12, v4, v8
	v_mul_hi_u32 v13, v7, v9
	v_mul_lo_u32 v9, v7, v9
	v_mul_hi_u32 v14, v7, v8
	v_mul_lo_u32 v8, v7, v8
	v_add_co_u32 v10, vcc_lo, v10, v11
	v_add_co_ci_u32_e32 v11, vcc_lo, 0, v12, vcc_lo
	v_add_co_u32 v9, vcc_lo, v10, v9
	v_add_co_ci_u32_e32 v9, vcc_lo, v11, v13, vcc_lo
	v_add_co_ci_u32_e32 v10, vcc_lo, 0, v14, vcc_lo
	v_add_co_u32 v8, vcc_lo, v9, v8
	v_add_co_ci_u32_e32 v9, vcc_lo, 0, v10, vcc_lo
	v_add_co_u32 v4, vcc_lo, v4, v8
	v_add_co_ci_u32_e32 v11, vcc_lo, v7, v9, vcc_lo
	v_mul_hi_u32 v13, v5, v4
	v_mad_u64_u32 v[9:10], null, v6, v4, 0
	v_mad_u64_u32 v[7:8], null, v5, v11, 0
	;; [unrolled: 1-line block ×3, first 2 shown]
	v_add_co_u32 v4, vcc_lo, v13, v7
	v_add_co_ci_u32_e32 v7, vcc_lo, 0, v8, vcc_lo
	v_add_co_u32 v4, vcc_lo, v4, v9
	v_add_co_ci_u32_e32 v4, vcc_lo, v7, v10, vcc_lo
	v_add_co_ci_u32_e32 v7, vcc_lo, 0, v12, vcc_lo
	v_add_co_u32 v4, vcc_lo, v4, v11
	v_add_co_ci_u32_e32 v9, vcc_lo, 0, v7, vcc_lo
	v_mul_lo_u32 v10, s19, v4
	v_mad_u64_u32 v[7:8], null, s18, v4, 0
	v_mul_lo_u32 v11, s18, v9
	v_sub_co_u32 v7, vcc_lo, v5, v7
	v_add3_u32 v8, v8, v11, v10
	v_sub_nc_u32_e32 v10, v6, v8
	v_subrev_co_ci_u32_e64 v10, s0, s19, v10, vcc_lo
	v_add_co_u32 v11, s0, v4, 2
	v_add_co_ci_u32_e64 v12, s0, 0, v9, s0
	v_sub_co_u32 v13, s0, v7, s18
	v_sub_co_ci_u32_e32 v8, vcc_lo, v6, v8, vcc_lo
	v_subrev_co_ci_u32_e64 v10, s0, 0, v10, s0
	v_cmp_le_u32_e32 vcc_lo, s18, v13
	v_cmp_eq_u32_e64 s0, s19, v8
	v_cndmask_b32_e64 v13, 0, -1, vcc_lo
	v_cmp_le_u32_e32 vcc_lo, s19, v10
	v_cndmask_b32_e64 v14, 0, -1, vcc_lo
	v_cmp_le_u32_e32 vcc_lo, s18, v7
	;; [unrolled: 2-line block ×3, first 2 shown]
	v_cndmask_b32_e64 v15, 0, -1, vcc_lo
	v_cmp_eq_u32_e32 vcc_lo, s19, v10
	v_cndmask_b32_e64 v7, v15, v7, s0
	v_cndmask_b32_e32 v10, v14, v13, vcc_lo
	v_add_co_u32 v13, vcc_lo, v4, 1
	v_add_co_ci_u32_e32 v14, vcc_lo, 0, v9, vcc_lo
	v_cmp_ne_u32_e32 vcc_lo, 0, v10
	v_cndmask_b32_e32 v8, v14, v12, vcc_lo
	v_cndmask_b32_e32 v10, v13, v11, vcc_lo
	v_cmp_ne_u32_e32 vcc_lo, 0, v7
	v_cndmask_b32_e32 v8, v9, v8, vcc_lo
	v_cndmask_b32_e32 v7, v4, v10, vcc_lo
.LBB0_4:                                ;   in Loop: Header=BB0_2 Depth=1
	s_andn2_saveexec_b32 s0, s1
	s_cbranch_execz .LBB0_6
; %bb.5:                                ;   in Loop: Header=BB0_2 Depth=1
	v_cvt_f32_u32_e32 v4, s18
	s_sub_i32 s1, 0, s18
	v_rcp_iflag_f32_e32 v4, v4
	v_mul_f32_e32 v4, 0x4f7ffffe, v4
	v_cvt_u32_f32_e32 v4, v4
	v_mul_lo_u32 v7, s1, v4
	v_mul_hi_u32 v7, v4, v7
	v_add_nc_u32_e32 v4, v4, v7
	v_mul_hi_u32 v4, v5, v4
	v_mul_lo_u32 v7, v4, s18
	v_add_nc_u32_e32 v8, 1, v4
	v_sub_nc_u32_e32 v7, v5, v7
	v_subrev_nc_u32_e32 v9, s18, v7
	v_cmp_le_u32_e32 vcc_lo, s18, v7
	v_cndmask_b32_e32 v7, v7, v9, vcc_lo
	v_cndmask_b32_e32 v4, v4, v8, vcc_lo
	v_cmp_le_u32_e32 vcc_lo, s18, v7
	v_add_nc_u32_e32 v8, 1, v4
	v_cndmask_b32_e32 v7, v4, v8, vcc_lo
	v_mov_b32_e32 v8, v3
.LBB0_6:                                ;   in Loop: Header=BB0_2 Depth=1
	s_or_b32 exec_lo, exec_lo, s0
	s_load_dwordx2 s[0:1], s[6:7], 0x0
	v_mul_lo_u32 v4, v8, s18
	v_mul_lo_u32 v11, v7, s19
	v_mad_u64_u32 v[9:10], null, v7, s18, 0
	s_add_u32 s16, s16, 1
	s_addc_u32 s17, s17, 0
	s_add_u32 s6, s6, 8
	s_addc_u32 s7, s7, 0
	;; [unrolled: 2-line block ×3, first 2 shown]
	v_add3_u32 v4, v10, v11, v4
	v_sub_co_u32 v5, vcc_lo, v5, v9
	v_sub_co_ci_u32_e32 v4, vcc_lo, v6, v4, vcc_lo
	s_waitcnt lgkmcnt(0)
	v_mul_lo_u32 v6, s1, v5
	v_mul_lo_u32 v4, s0, v4
	v_mad_u64_u32 v[1:2], null, s0, v5, v[1:2]
	v_cmp_ge_u64_e64 s0, s[16:17], s[10:11]
	s_and_b32 vcc_lo, exec_lo, s0
	v_add3_u32 v2, v6, v2, v4
	s_cbranch_vccnz .LBB0_9
; %bb.7:                                ;   in Loop: Header=BB0_2 Depth=1
	v_mov_b32_e32 v5, v7
	v_mov_b32_e32 v6, v8
	s_branch .LBB0_2
.LBB0_8:
	v_mov_b32_e32 v8, v6
	v_mov_b32_e32 v7, v5
.LBB0_9:
	s_lshl_b64 s[0:1], s[10:11], 3
	v_mul_hi_u32 v3, 0x2082083, v0
	s_add_u32 s0, s12, s0
	s_addc_u32 s1, s13, s1
	s_load_dwordx2 s[4:5], s[4:5], 0x20
	s_load_dwordx2 s[0:1], s[0:1], 0x0
	v_mul_u32_u24_e32 v3, 0x7e, v3
	v_sub_nc_u32_e32 v0, v0, v3
	v_add_nc_u32_e32 v17, 0x7e, v0
	v_add_nc_u32_e32 v9, 0xfc, v0
	s_waitcnt lgkmcnt(0)
	v_cmp_gt_u64_e32 vcc_lo, s[4:5], v[7:8]
	v_mul_lo_u32 v3, s0, v8
	v_mul_lo_u32 v4, s1, v7
	v_mad_u64_u32 v[1:2], null, s0, v7, v[1:2]
	v_cmp_le_u64_e64 s0, s[4:5], v[7:8]
	v_add_nc_u32_e32 v8, 0x17a, v0
	v_add3_u32 v2, v4, v2, v3
	s_and_saveexec_b32 s1, s0
	s_xor_b32 s0, exec_lo, s1
; %bb.10:
	v_add_nc_u32_e32 v17, 0x7e, v0
	v_add_nc_u32_e32 v9, 0xfc, v0
	;; [unrolled: 1-line block ×3, first 2 shown]
; %bb.11:
	s_or_saveexec_b32 s1, s0
	v_lshlrev_b64 v[2:3], 2, v[1:2]
	s_xor_b32 exec_lo, exec_lo, s1
	s_cbranch_execz .LBB0_13
; %bb.12:
	v_mov_b32_e32 v1, 0
	v_lshlrev_b64 v[4:5], 2, v[0:1]
	v_add_co_u32 v1, s0, s2, v2
	v_add_co_ci_u32_e64 v6, s0, s3, v3, s0
	v_add_co_u32 v4, s0, v1, v4
	v_add_co_ci_u32_e64 v5, s0, v6, v5, s0
	;; [unrolled: 2-line block ×3, first 2 shown]
	s_clause 0x8
	global_load_dword v1, v[4:5], off
	global_load_dword v10, v[4:5], off offset:504
	global_load_dword v11, v[4:5], off offset:1008
	;; [unrolled: 1-line block ×8, first 2 shown]
	v_lshl_add_u32 v7, v0, 2, 0
	v_add_nc_u32_e32 v15, 0x200, v7
	v_add_nc_u32_e32 v16, 0x600, v7
	;; [unrolled: 1-line block ×3, first 2 shown]
	s_waitcnt vmcnt(7)
	ds_write2_b32 v7, v1, v10 offset1:126
	s_waitcnt vmcnt(5)
	ds_write2_b32 v15, v11, v12 offset0:124 offset1:250
	s_waitcnt vmcnt(3)
	ds_write2_b32 v16, v4, v5 offset0:120 offset1:246
	;; [unrolled: 2-line block ×3, first 2 shown]
	s_waitcnt vmcnt(0)
	ds_write_b32 v7, v6 offset:4032
.LBB0_13:
	s_or_b32 exec_lo, exec_lo, s1
	v_lshlrev_b32_e32 v12, 2, v0
	s_waitcnt lgkmcnt(0)
	s_barrier
	buffer_gl0_inv
	v_lshl_add_u32 v11, v9, 3, 0
	v_add_nc_u32_e32 v16, 0, v12
	s_mov_b32 s1, exec_lo
	v_add_nc_u32_e32 v7, 0x600, v16
	v_add_nc_u32_e32 v6, 0xa00, v16
	;; [unrolled: 1-line block ×4, first 2 shown]
	ds_read2_b32 v[13:14], v16 offset1:126
	ds_read2_b32 v[4:5], v7 offset0:120 offset1:183
	ds_read2_b32 v[18:19], v6 offset0:53 offset1:179
	;; [unrolled: 1-line block ×4, first 2 shown]
	v_lshl_add_u32 v1, v17, 3, 0
	v_lshl_add_u32 v10, v8, 3, 0
	v_add_nc_u32_e32 v15, v16, v12
	s_waitcnt lgkmcnt(0)
	s_barrier
	buffer_gl0_inv
	v_pk_add_f16 v24, v13, v5 neg_lo:[0,1] neg_hi:[0,1]
	v_pk_add_f16 v18, v14, v18 neg_lo:[0,1] neg_hi:[0,1]
	;; [unrolled: 1-line block ×5, first 2 shown]
	v_pk_fma_f16 v13, v13, 2.0, v24 op_sel_hi:[1,0,1] neg_lo:[0,0,1] neg_hi:[0,0,1]
	v_pk_fma_f16 v14, v14, 2.0, v18 op_sel_hi:[1,0,1] neg_lo:[0,0,1] neg_hi:[0,0,1]
	;; [unrolled: 1-line block ×4, first 2 shown]
	ds_write2_b32 v15, v13, v24 offset1:1
	ds_write2_b32 v1, v14, v18 offset1:1
	;; [unrolled: 1-line block ×4, first 2 shown]
	v_cmpx_gt_u32_e32 63, v0
	s_cbranch_execz .LBB0_15
; %bb.14:
	v_pk_fma_f16 v4, v4, 2.0, v5 op_sel_hi:[1,0,1] neg_lo:[0,0,1] neg_hi:[0,0,1]
	v_add3_u32 v12, v16, v12, 0xfc0
	ds_write2_b32 v12, v4, v5 offset1:1
.LBB0_15:
	s_or_b32 exec_lo, exec_lo, s1
	v_and_b32_e32 v15, 1, v0
	s_waitcnt lgkmcnt(0)
	s_barrier
	buffer_gl0_inv
	v_lshlrev_b32_e32 v25, 2, v9
	v_lshlrev_b32_e32 v4, 3, v15
	ds_read2_b32 v[20:21], v6 offset0:116 offset1:242
	ds_read_b32 v24, v16
	ds_read2_b32 v[22:23], v7 offset0:120 offset1:246
	v_sub_nc_u32_e32 v11, v11, v25
	global_load_dwordx2 v[18:19], v4, s[8:9]
	v_lshlrev_b32_e32 v4, 2, v8
	v_lshlrev_b32_e32 v8, 2, v17
	v_lshrrev_b32_e32 v26, 1, v0
	v_lshrrev_b32_e32 v27, 1, v17
	;; [unrolled: 1-line block ×3, first 2 shown]
	v_sub_nc_u32_e32 v10, v10, v4
	v_sub_nc_u32_e32 v4, v1, v8
	v_and_b32_e32 v13, 0xff, v0
	v_mul_u32_u24_e32 v25, 6, v26
	ds_read_b32 v31, v4
	ds_read_b32 v32, v11
	;; [unrolled: 1-line block ×3, first 2 shown]
	ds_read_b32 v34, v16 offset:4032
	v_mul_lo_u32 v26, v27, 6
	v_mul_lo_u32 v27, v28, 6
	v_mul_lo_u16 v28, 0xab, v13
	v_or_b32_e32 v25, v25, v15
	s_waitcnt lgkmcnt(6)
	v_lshrrev_b32_e32 v38, 16, v20
	s_waitcnt lgkmcnt(4)
	v_lshrrev_b32_e32 v39, 16, v22
	v_lshrrev_b32_e32 v41, 16, v23
	v_lshrrev_b16 v28, 10, v28
	v_or_b32_e32 v26, v26, v15
	v_or_b32_e32 v15, v27, v15
	v_and_b32_e32 v14, 0xff, v17
	v_lshrrev_b32_e32 v37, 16, v24
	v_mul_lo_u16 v27, v28, 6
	v_mov_b32_e32 v29, 0xaaab
	v_mov_b32_e32 v12, 3
	v_mul_lo_u16 v30, 0xab, v14
	s_waitcnt lgkmcnt(3)
	v_lshrrev_b32_e32 v45, 16, v31
	v_sub_nc_u16 v40, v0, v27
	s_waitcnt lgkmcnt(1)
	v_lshrrev_b32_e32 v43, 16, v33
	v_lshrrev_b32_e32 v27, 16, v21
	s_waitcnt lgkmcnt(0)
	v_lshrrev_b32_e32 v47, 16, v34
	v_lshrrev_b32_e32 v46, 16, v32
	v_mul_u32_u24_sdwa v29, v9, v29 dst_sel:DWORD dst_unused:UNUSED_PAD src0_sel:WORD_0 src1_sel:DWORD
	v_lshrrev_b16 v30, 10, v30
	v_lshl_add_u32 v25, v25, 2, 0
	v_lshlrev_b32_sdwa v42, v12, v40 dst_sel:DWORD dst_unused:UNUSED_PAD src0_sel:DWORD src1_sel:BYTE_0
	v_lshl_add_u32 v26, v26, 2, 0
	v_lshrrev_b32_e32 v29, 18, v29
	v_mul_lo_u16 v35, v30, 6
	v_lshl_add_u32 v15, v15, 2, 0
	s_waitcnt vmcnt(0)
	s_barrier
	v_mul_lo_u16 v36, v29, 6
	v_sub_nc_u16 v35, v17, v35
	buffer_gl0_inv
	v_mul_u32_u24_e32 v29, 0x48, v29
	v_cmp_gt_u32_e64 s0, 36, v0
	v_sub_nc_u16 v36, v9, v36
	v_lshlrev_b32_sdwa v44, v12, v35 dst_sel:DWORD dst_unused:UNUSED_PAD src0_sel:DWORD src1_sel:BYTE_0
	v_mul_f16_sdwa v48, v18, v43 dst_sel:DWORD dst_unused:UNUSED_PAD src0_sel:WORD_1 src1_sel:DWORD
	v_mul_f16_sdwa v49, v18, v33 dst_sel:DWORD dst_unused:UNUSED_PAD src0_sel:WORD_1 src1_sel:DWORD
	;; [unrolled: 1-line block ×12, first 2 shown]
	v_fmac_f16_e32 v48, v18, v33
	v_fma_f16 v33, v18, v43, -v49
	v_fmac_f16_e32 v50, v19, v20
	v_fma_f16 v20, v19, v38, -v51
	v_fmac_f16_e32 v52, v18, v22
	v_fma_f16 v22, v18, v39, -v53
	v_fmac_f16_e32 v54, v19, v21
	v_fma_f16 v21, v19, v27, -v55
	v_fmac_f16_e32 v56, v18, v23
	v_fma_f16 v18, v18, v41, -v57
	v_fmac_f16_e32 v58, v19, v34
	v_fma_f16 v19, v19, v47, -v59
	v_add_f16_e32 v27, v48, v50
	v_sub_f16_e32 v34, v33, v20
	v_add_f16_e32 v38, v37, v33
	v_add_f16_e32 v33, v33, v20
	;; [unrolled: 1-line block ×3, first 2 shown]
	v_sub_f16_e32 v39, v48, v50
	v_add_f16_e32 v43, v52, v54
	v_sub_f16_e32 v47, v22, v21
	v_add_f16_e32 v48, v45, v22
	v_add_f16_e32 v22, v22, v21
	;; [unrolled: 1-line block ×3, first 2 shown]
	v_sub_f16_e32 v49, v52, v54
	v_add_f16_e32 v52, v56, v58
	v_sub_f16_e32 v53, v18, v19
	v_add_f16_e32 v55, v46, v18
	v_add_f16_e32 v18, v18, v19
	v_fmac_f16_e32 v24, -0.5, v27
	v_fmac_f16_e32 v37, -0.5, v33
	v_add_f16_e32 v51, v32, v56
	v_fmac_f16_e32 v31, -0.5, v43
	v_fmac_f16_e32 v45, -0.5, v22
	v_sub_f16_e32 v56, v56, v58
	v_fmac_f16_e32 v32, -0.5, v52
	v_fmac_f16_e32 v46, -0.5, v18
	v_add_f16_e32 v23, v23, v50
	v_add_f16_e32 v20, v38, v20
	v_fmamk_f16 v18, v34, 0xbaee, v24
	v_fmamk_f16 v33, v39, 0x3aee, v37
	v_add_f16_e32 v22, v51, v58
	v_add_f16_e32 v19, v55, v19
	v_fmac_f16_e32 v24, 0x3aee, v34
	v_fmac_f16_e32 v37, 0xbaee, v39
	v_add_f16_e32 v27, v41, v54
	v_add_f16_e32 v21, v48, v21
	v_fmamk_f16 v34, v47, 0xbaee, v31
	v_fmamk_f16 v38, v49, 0x3aee, v45
	v_fmac_f16_e32 v31, 0x3aee, v47
	v_fmac_f16_e32 v45, 0xbaee, v49
	v_fmamk_f16 v39, v53, 0xbaee, v32
	v_fmamk_f16 v41, v56, 0x3aee, v46
	v_fmac_f16_e32 v32, 0x3aee, v53
	v_fmac_f16_e32 v46, 0xbaee, v56
	v_pack_b32_f16 v20, v23, v20
	v_pack_b32_f16 v18, v18, v33
	v_pack_b32_f16 v19, v22, v19
	v_pack_b32_f16 v22, v24, v37
	v_pack_b32_f16 v21, v27, v21
	v_pack_b32_f16 v23, v34, v38
	v_pack_b32_f16 v24, v31, v45
	v_pack_b32_f16 v27, v39, v41
	v_pack_b32_f16 v31, v32, v46
	ds_write2_b32 v25, v20, v18 offset1:2
	ds_write_b32 v25, v22 offset:16
	ds_write2_b32 v26, v21, v23 offset1:2
	ds_write_b32 v26, v24 offset:16
	;; [unrolled: 2-line block ×3, first 2 shown]
	s_waitcnt lgkmcnt(0)
	s_barrier
	buffer_gl0_inv
	s_clause 0x1
	global_load_dwordx2 v[18:19], v42, s[8:9] offset:16
	global_load_dwordx2 v[20:21], v44, s[8:9] offset:16
	v_lshlrev_b32_sdwa v15, v12, v36 dst_sel:DWORD dst_unused:UNUSED_PAD src0_sel:DWORD src1_sel:WORD_0
	v_mul_lo_u16 v24, v13, 57
	v_mul_lo_u16 v25, v14, 57
	v_mov_b32_e32 v26, 0x48
	v_mov_b32_e32 v31, 2
	global_load_dwordx2 v[22:23], v15, s[8:9] offset:16
	v_lshrrev_b16 v32, 10, v24
	ds_read_b32 v38, v16
	ds_read_b32 v39, v4
	;; [unrolled: 1-line block ×4, first 2 shown]
	ds_read_b32 v43, v16 offset:4032
	v_lshrrev_b16 v33, 10, v25
	v_mul_u32_u24_sdwa v28, v28, v26 dst_sel:DWORD dst_unused:UNUSED_PAD src0_sel:WORD_0 src1_sel:DWORD
	v_mul_u32_u24_sdwa v30, v30, v26 dst_sel:DWORD dst_unused:UNUSED_PAD src0_sel:WORD_0 src1_sel:DWORD
	v_mul_lo_u16 v24, v32, 18
	v_lshlrev_b32_sdwa v35, v31, v35 dst_sel:DWORD dst_unused:UNUSED_PAD src0_sel:DWORD src1_sel:BYTE_0
	v_lshlrev_b32_sdwa v36, v31, v36 dst_sel:DWORD dst_unused:UNUSED_PAD src0_sel:DWORD src1_sel:WORD_0
	v_lshlrev_b32_sdwa v40, v31, v40 dst_sel:DWORD dst_unused:UNUSED_PAD src0_sel:DWORD src1_sel:BYTE_0
	v_mov_b32_e32 v15, 0xe38f
	v_sub_nc_u16 v44, v0, v24
	ds_read2_b32 v[24:25], v6 offset0:116 offset1:242
	ds_read2_b32 v[26:27], v7 offset0:120 offset1:246
	v_add3_u32 v30, 0, v30, v35
	v_add3_u32 v29, 0, v29, v36
	;; [unrolled: 1-line block ×3, first 2 shown]
	v_mul_u32_u24_sdwa v15, v9, v15 dst_sel:DWORD dst_unused:UNUSED_PAD src0_sel:WORD_0 src1_sel:DWORD
	v_mul_lo_u16 v34, v33, 18
	s_waitcnt lgkmcnt(6)
	v_lshrrev_b32_e32 v35, 16, v38
	s_waitcnt lgkmcnt(5)
	v_lshrrev_b32_e32 v36, 16, v39
	;; [unrolled: 2-line block ×5, first 2 shown]
	v_lshrrev_b32_e32 v15, 20, v15
	v_sub_nc_u16 v34, v17, v34
	v_lshlrev_b32_sdwa v45, v12, v44 dst_sel:DWORD dst_unused:UNUSED_PAD src0_sel:DWORD src1_sel:BYTE_0
	s_waitcnt vmcnt(0) lgkmcnt(0)
	s_barrier
	v_mul_lo_u16 v37, v15, 18
	v_lshlrev_b32_sdwa v46, v12, v34 dst_sel:DWORD dst_unused:UNUSED_PAD src0_sel:DWORD src1_sel:BYTE_0
	buffer_gl0_inv
	v_lshrrev_b32_e32 v49, 16, v24
	v_lshrrev_b32_e32 v50, 16, v26
	;; [unrolled: 1-line block ×4, first 2 shown]
	v_sub_nc_u16 v37, v9, v37
	v_mul_lo_u16 v13, v13, 19
	v_mul_lo_u16 v14, v14, 19
	v_lshlrev_b32_sdwa v34, v31, v34 dst_sel:DWORD dst_unused:UNUSED_PAD src0_sel:DWORD src1_sel:BYTE_0
	v_mul_u32_u24_e32 v15, 0xd8, v15
	v_mul_f16_sdwa v53, v18, v48 dst_sel:DWORD dst_unused:UNUSED_PAD src0_sel:WORD_1 src1_sel:DWORD
	v_mul_f16_sdwa v54, v18, v42 dst_sel:DWORD dst_unused:UNUSED_PAD src0_sel:WORD_1 src1_sel:DWORD
	;; [unrolled: 1-line block ×7, first 2 shown]
	v_fmac_f16_e32 v53, v18, v42
	v_mul_f16_sdwa v42, v21, v25 dst_sel:DWORD dst_unused:UNUSED_PAD src0_sel:WORD_1 src1_sel:DWORD
	v_fma_f16 v18, v18, v48, -v54
	v_mul_f16_sdwa v48, v22, v52 dst_sel:DWORD dst_unused:UNUSED_PAD src0_sel:WORD_1 src1_sel:DWORD
	v_fma_f16 v49, v19, v49, -v56
	v_mul_f16_sdwa v54, v22, v27 dst_sel:DWORD dst_unused:UNUSED_PAD src0_sel:WORD_1 src1_sel:DWORD
	v_fmac_f16_e32 v55, v19, v24
	v_mul_f16_sdwa v19, v47, v23 dst_sel:DWORD dst_unused:UNUSED_PAD src0_sel:DWORD src1_sel:WORD_1
	v_mul_f16_sdwa v24, v43, v23 dst_sel:DWORD dst_unused:UNUSED_PAD src0_sel:DWORD src1_sel:WORD_1
	v_fmac_f16_e32 v57, v20, v26
	v_fma_f16 v20, v20, v50, -v58
	v_fmac_f16_e32 v59, v21, v25
	v_fma_f16 v21, v21, v51, -v42
	;; [unrolled: 2-line block ×4, first 2 shown]
	v_add_f16_e32 v25, v53, v55
	v_sub_f16_e32 v26, v18, v49
	v_add_f16_e32 v27, v35, v18
	v_add_f16_e32 v18, v18, v49
	;; [unrolled: 1-line block ×3, first 2 shown]
	v_sub_f16_e32 v50, v20, v21
	v_add_f16_e32 v51, v36, v20
	v_add_f16_e32 v20, v20, v21
	;; [unrolled: 1-line block ×3, first 2 shown]
	v_sub_f16_e32 v52, v57, v59
	v_add_f16_e32 v54, v48, v19
	v_sub_f16_e32 v56, v22, v23
	v_add_f16_e32 v57, v40, v22
	v_add_f16_e32 v22, v22, v23
	;; [unrolled: 1-line block ×3, first 2 shown]
	v_sub_f16_e32 v42, v53, v55
	v_add_f16_e32 v53, v41, v48
	v_fmac_f16_e32 v38, -0.5, v25
	v_fmac_f16_e32 v35, -0.5, v18
	;; [unrolled: 1-line block ×4, first 2 shown]
	v_sub_f16_e32 v48, v48, v19
	v_fmac_f16_e32 v41, -0.5, v54
	v_fmac_f16_e32 v40, -0.5, v22
	v_add_f16_e32 v24, v24, v55
	v_add_f16_e32 v25, v27, v49
	;; [unrolled: 1-line block ×4, first 2 shown]
	v_fmamk_f16 v22, v26, 0xbaee, v38
	v_fmamk_f16 v23, v42, 0x3aee, v35
	v_add_f16_e32 v18, v43, v59
	v_add_f16_e32 v21, v51, v21
	v_fmac_f16_e32 v38, 0x3aee, v26
	v_fmac_f16_e32 v35, 0xbaee, v42
	v_fmamk_f16 v26, v50, 0xbaee, v39
	v_fmamk_f16 v27, v52, 0x3aee, v36
	v_fmac_f16_e32 v39, 0x3aee, v50
	v_fmac_f16_e32 v36, 0xbaee, v52
	v_fmamk_f16 v42, v56, 0xbaee, v41
	v_fmamk_f16 v43, v48, 0x3aee, v40
	v_fmac_f16_e32 v41, 0x3aee, v56
	v_fmac_f16_e32 v40, 0xbaee, v48
	v_pack_b32_f16 v24, v24, v25
	v_pack_b32_f16 v19, v19, v20
	;; [unrolled: 1-line block ×9, first 2 shown]
	ds_write2_b32 v28, v24, v20 offset1:6
	ds_write_b32 v28, v21 offset:48
	ds_write2_b32 v30, v18, v22 offset1:6
	ds_write_b32 v30, v23 offset:48
	ds_write2_b32 v29, v19, v25 offset1:6
	ds_write_b32 v29, v26 offset:48
	s_waitcnt lgkmcnt(0)
	s_barrier
	buffer_gl0_inv
	global_load_dwordx2 v[18:19], v45, s[8:9] offset:64
	v_lshlrev_b32_sdwa v22, v12, v37 dst_sel:DWORD dst_unused:UNUSED_PAD src0_sel:DWORD src1_sel:WORD_0
	s_clause 0x1
	global_load_dwordx2 v[20:21], v46, s[8:9] offset:64
	global_load_dwordx2 v[22:23], v22, s[8:9] offset:64
	v_lshrrev_b16 v24, 1, v9
	v_mov_b32_e32 v25, 0x97b5
	v_lshrrev_b16 v26, 10, v13
	ds_read_b32 v35, v16
	ds_read_b32 v36, v4
	;; [unrolled: 1-line block ×4, first 2 shown]
	ds_read_b32 v40, v16 offset:4032
	v_lshrrev_b16 v27, 10, v14
	v_lshlrev_b32_sdwa v37, v31, v37 dst_sel:DWORD dst_unused:UNUSED_PAD src0_sel:DWORD src1_sel:WORD_0
	v_mul_u32_u24_sdwa v24, v24, v25 dst_sel:DWORD dst_unused:UNUSED_PAD src0_sel:WORD_0 src1_sel:DWORD
	v_mov_b32_e32 v25, 0xd8
	v_mul_lo_u16 v13, v26, 54
	v_add3_u32 v15, 0, v15, v37
	v_lshrrev_b32_e32 v28, 20, v24
	v_mul_u32_u24_sdwa v29, v32, v25 dst_sel:DWORD dst_unused:UNUSED_PAD src0_sel:WORD_0 src1_sel:DWORD
	v_mul_u32_u24_sdwa v30, v33, v25 dst_sel:DWORD dst_unused:UNUSED_PAD src0_sel:WORD_0 src1_sel:DWORD
	v_sub_nc_u16 v41, v0, v13
	ds_read2_b32 v[13:14], v6 offset0:116 offset1:242
	ds_read2_b32 v[24:25], v7 offset0:120 offset1:246
	v_mul_lo_u16 v33, v28, 54
	v_mul_lo_u16 v32, v27, 54
	s_waitcnt vmcnt(0) lgkmcnt(0)
	v_lshlrev_b32_sdwa v42, v12, v41 dst_sel:DWORD dst_unused:UNUSED_PAD src0_sel:DWORD src1_sel:BYTE_0
	s_barrier
	v_sub_nc_u16 v33, v9, v33
	v_lshrrev_b32_e32 v45, 16, v39
	v_lshlrev_b32_sdwa v9, v31, v44 dst_sel:DWORD dst_unused:UNUSED_PAD src0_sel:DWORD src1_sel:BYTE_0
	v_lshrrev_b32_e32 v44, 16, v40
	v_lshrrev_b32_e32 v37, 16, v38
	v_sub_nc_u16 v32, v17, v32
	buffer_gl0_inv
	v_add3_u32 v9, 0, v29, v9
	v_add3_u32 v29, 0, v30, v34
	v_lshrrev_b32_e32 v30, 16, v35
	v_lshrrev_b32_e32 v34, 16, v36
	v_lshlrev_b32_sdwa v43, v12, v32 dst_sel:DWORD dst_unused:UNUSED_PAD src0_sel:DWORD src1_sel:BYTE_0
	v_lshrrev_b32_e32 v46, 16, v13
	v_lshrrev_b32_e32 v47, 16, v24
	;; [unrolled: 1-line block ×4, first 2 shown]
	v_mul_f16_sdwa v50, v18, v45 dst_sel:DWORD dst_unused:UNUSED_PAD src0_sel:WORD_1 src1_sel:DWORD
	v_mul_f16_sdwa v51, v18, v39 dst_sel:DWORD dst_unused:UNUSED_PAD src0_sel:WORD_1 src1_sel:DWORD
	v_mul_f16_sdwa v52, v19, v46 dst_sel:DWORD dst_unused:UNUSED_PAD src0_sel:WORD_1 src1_sel:DWORD
	v_mul_f16_sdwa v53, v19, v13 dst_sel:DWORD dst_unused:UNUSED_PAD src0_sel:WORD_1 src1_sel:DWORD
	v_mul_f16_sdwa v54, v20, v47 dst_sel:DWORD dst_unused:UNUSED_PAD src0_sel:WORD_1 src1_sel:DWORD
	v_mul_f16_sdwa v55, v20, v24 dst_sel:DWORD dst_unused:UNUSED_PAD src0_sel:WORD_1 src1_sel:DWORD
	v_mul_f16_sdwa v56, v21, v48 dst_sel:DWORD dst_unused:UNUSED_PAD src0_sel:WORD_1 src1_sel:DWORD
	v_mul_f16_sdwa v57, v21, v14 dst_sel:DWORD dst_unused:UNUSED_PAD src0_sel:WORD_1 src1_sel:DWORD
	v_mul_f16_sdwa v58, v22, v49 dst_sel:DWORD dst_unused:UNUSED_PAD src0_sel:WORD_1 src1_sel:DWORD
	v_mul_f16_sdwa v59, v22, v25 dst_sel:DWORD dst_unused:UNUSED_PAD src0_sel:WORD_1 src1_sel:DWORD
	v_fmac_f16_e32 v50, v18, v39
	v_mul_f16_sdwa v39, v44, v23 dst_sel:DWORD dst_unused:UNUSED_PAD src0_sel:DWORD src1_sel:WORD_1
	v_fma_f16 v18, v18, v45, -v51
	v_mul_f16_sdwa v45, v40, v23 dst_sel:DWORD dst_unused:UNUSED_PAD src0_sel:DWORD src1_sel:WORD_1
	v_fmac_f16_e32 v52, v19, v13
	v_fma_f16 v13, v19, v46, -v53
	v_fmac_f16_e32 v54, v20, v24
	v_fma_f16 v19, v20, v47, -v55
	;; [unrolled: 2-line block ×5, first 2 shown]
	v_add_f16_e32 v23, v50, v52
	v_sub_f16_e32 v24, v18, v13
	v_add_f16_e32 v25, v30, v18
	v_add_f16_e32 v18, v18, v13
	;; [unrolled: 1-line block ×3, first 2 shown]
	v_sub_f16_e32 v46, v19, v14
	v_add_f16_e32 v47, v34, v19
	v_add_f16_e32 v19, v19, v14
	;; [unrolled: 1-line block ×3, first 2 shown]
	v_sub_f16_e32 v40, v50, v52
	v_add_f16_e32 v50, v58, v39
	v_sub_f16_e32 v51, v20, v21
	v_add_f16_e32 v53, v37, v20
	v_add_f16_e32 v20, v20, v21
	;; [unrolled: 1-line block ×4, first 2 shown]
	v_fmac_f16_e32 v35, -0.5, v23
	v_fmac_f16_e32 v30, -0.5, v18
	v_sub_f16_e32 v48, v54, v56
	v_fmac_f16_e32 v36, -0.5, v45
	v_fmac_f16_e32 v34, -0.5, v19
	v_sub_f16_e32 v54, v58, v39
	v_fmac_f16_e32 v38, -0.5, v50
	v_fmac_f16_e32 v37, -0.5, v20
	v_add_f16_e32 v22, v22, v52
	v_add_f16_e32 v13, v25, v13
	;; [unrolled: 1-line block ×6, first 2 shown]
	v_fmamk_f16 v20, v24, 0xbaee, v35
	v_fmamk_f16 v23, v40, 0x3aee, v30
	v_fmac_f16_e32 v35, 0x3aee, v24
	v_fmac_f16_e32 v30, 0xbaee, v40
	v_fmamk_f16 v24, v46, 0xbaee, v36
	v_fmamk_f16 v25, v48, 0x3aee, v34
	v_fmac_f16_e32 v36, 0x3aee, v46
	v_fmac_f16_e32 v34, 0xbaee, v48
	;; [unrolled: 4-line block ×3, first 2 shown]
	v_pack_b32_f16 v13, v22, v13
	v_pack_b32_f16 v14, v18, v14
	;; [unrolled: 1-line block ×9, first 2 shown]
	ds_write2_b32 v9, v13, v19 offset1:18
	ds_write_b32 v9, v20 offset:144
	ds_write2_b32 v29, v14, v21 offset1:18
	ds_write_b32 v29, v22 offset:144
	;; [unrolled: 2-line block ×3, first 2 shown]
	v_lshlrev_b32_sdwa v9, v12, v33 dst_sel:DWORD dst_unused:UNUSED_PAD src0_sel:DWORD src1_sel:WORD_0
	s_waitcnt lgkmcnt(0)
	s_barrier
	buffer_gl0_inv
	s_clause 0x2
	global_load_dwordx2 v[13:14], v42, s[8:9] offset:208
	global_load_dwordx2 v[19:20], v43, s[8:9] offset:208
	;; [unrolled: 1-line block ×3, first 2 shown]
	ds_read_b32 v23, v16
	ds_read_b32 v24, v4
	;; [unrolled: 1-line block ×4, first 2 shown]
	ds_read_b32 v29, v16 offset:4032
	ds_read2_b32 v[9:10], v6 offset0:116 offset1:242
	ds_read2_b32 v[11:12], v7 offset0:120 offset1:246
	v_mov_b32_e32 v15, 0x288
	v_lshlrev_b32_sdwa v30, v31, v33 dst_sel:DWORD dst_unused:UNUSED_PAD src0_sel:DWORD src1_sel:WORD_0
	s_waitcnt vmcnt(0) lgkmcnt(0)
	s_barrier
	buffer_gl0_inv
	v_mul_u32_u24_sdwa v18, v26, v15 dst_sel:DWORD dst_unused:UNUSED_PAD src0_sel:WORD_0 src1_sel:DWORD
	v_mul_u32_u24_sdwa v7, v27, v15 dst_sel:DWORD dst_unused:UNUSED_PAD src0_sel:WORD_0 src1_sel:DWORD
	v_mul_u32_u24_e32 v15, 0x288, v28
	v_lshlrev_b32_sdwa v28, v31, v32 dst_sel:DWORD dst_unused:UNUSED_PAD src0_sel:DWORD src1_sel:BYTE_0
	v_lshlrev_b32_sdwa v27, v31, v41 dst_sel:DWORD dst_unused:UNUSED_PAD src0_sel:DWORD src1_sel:BYTE_0
	v_add_nc_u32_e32 v26, 0x400, v16
	v_add3_u32 v15, 0, v15, v30
	v_add3_u32 v7, 0, v7, v28
	v_lshrrev_b32_e32 v28, 16, v23
	v_lshrrev_b32_e32 v30, 16, v24
	v_add3_u32 v27, 0, v18, v27
	v_lshrrev_b32_e32 v32, 16, v25
	v_lshrrev_b32_e32 v33, 16, v9
	;; [unrolled: 1-line block ×7, first 2 shown]
	v_mul_f16_sdwa v37, v13, v32 dst_sel:DWORD dst_unused:UNUSED_PAD src0_sel:WORD_1 src1_sel:DWORD
	v_mul_f16_sdwa v38, v13, v25 dst_sel:DWORD dst_unused:UNUSED_PAD src0_sel:WORD_1 src1_sel:DWORD
	;; [unrolled: 1-line block ×10, first 2 shown]
	v_mul_f16_sdwa v47, v31, v22 dst_sel:DWORD dst_unused:UNUSED_PAD src0_sel:DWORD src1_sel:WORD_1
	v_mul_f16_sdwa v48, v29, v22 dst_sel:DWORD dst_unused:UNUSED_PAD src0_sel:DWORD src1_sel:WORD_1
	v_fmac_f16_e32 v37, v13, v25
	v_fma_f16 v13, v13, v32, -v38
	v_fmac_f16_e32 v39, v14, v9
	v_fma_f16 v9, v14, v33, -v40
	v_fmac_f16_e32 v41, v19, v11
	v_fma_f16 v11, v19, v34, -v42
	v_fmac_f16_e32 v43, v20, v10
	v_fma_f16 v10, v20, v35, -v44
	v_fmac_f16_e32 v45, v21, v12
	v_fma_f16 v12, v21, v36, -v46
	v_fmac_f16_e32 v47, v29, v22
	v_fma_f16 v14, v31, v22, -v48
	v_add_f16_e32 v20, v37, v39
	v_sub_f16_e32 v21, v13, v9
	v_add_f16_e32 v22, v28, v13
	v_add_f16_e32 v13, v13, v9
	;; [unrolled: 1-line block ×3, first 2 shown]
	v_sub_f16_e32 v32, v11, v10
	v_add_f16_e32 v33, v30, v11
	v_add_f16_e32 v11, v11, v10
	;; [unrolled: 1-line block ×3, first 2 shown]
	v_sub_f16_e32 v25, v37, v39
	v_add_f16_e32 v36, v45, v47
	v_sub_f16_e32 v37, v12, v14
	v_add_f16_e32 v38, v18, v12
	v_add_f16_e32 v12, v12, v14
	v_fmac_f16_e32 v23, -0.5, v20
	v_fmac_f16_e32 v28, -0.5, v13
	v_add_f16_e32 v29, v24, v41
	v_sub_f16_e32 v34, v41, v43
	v_add_f16_e32 v35, v4, v45
	v_fmac_f16_e32 v24, -0.5, v31
	v_fmac_f16_e32 v30, -0.5, v11
	v_sub_f16_e32 v40, v45, v47
	v_fmac_f16_e32 v4, -0.5, v36
	v_fmac_f16_e32 v18, -0.5, v12
	v_add_f16_e32 v39, v19, v39
	v_add_f16_e32 v9, v22, v9
	v_fmamk_f16 v12, v21, 0xbaee, v23
	v_fmac_f16_e32 v23, 0x3aee, v21
	v_fmamk_f16 v21, v25, 0x3aee, v28
	v_add_f16_e32 v13, v29, v43
	v_add_f16_e32 v10, v33, v10
	v_fmac_f16_e32 v28, 0xbaee, v25
	v_add_f16_e32 v11, v35, v47
	v_add_f16_e32 v14, v38, v14
	v_fmamk_f16 v22, v32, 0xbaee, v24
	v_fmamk_f16 v25, v34, 0x3aee, v30
	v_fmac_f16_e32 v24, 0x3aee, v32
	v_fmac_f16_e32 v30, 0xbaee, v34
	v_fmamk_f16 v19, v37, 0xbaee, v4
	v_fmamk_f16 v20, v40, 0x3aee, v18
	v_fmac_f16_e32 v4, 0x3aee, v37
	v_fmac_f16_e32 v18, 0xbaee, v40
	v_pack_b32_f16 v9, v39, v9
	v_pack_b32_f16 v12, v12, v21
	;; [unrolled: 1-line block ×9, first 2 shown]
	ds_write2_b32 v27, v9, v12 offset1:54
	ds_write_b32 v27, v13 offset:432
	ds_write2_b32 v7, v10, v14 offset1:54
	ds_write_b32 v7, v21 offset:432
	;; [unrolled: 2-line block ×3, first 2 shown]
	s_waitcnt lgkmcnt(0)
	s_barrier
	buffer_gl0_inv
	ds_read2_b32 v[10:11], v16 offset1:162
	ds_read2_b32 v[14:15], v26 offset0:68 offset1:230
	ds_read2_b32 v[12:13], v6 offset0:8 offset1:170
	ds_read_b32 v27, v16 offset:3888
	v_lshrrev_b32_e32 v21, 16, v5
                                        ; implicit-def: $vgpr22
                                        ; implicit-def: $vgpr7
                                        ; implicit-def: $vgpr25
                                        ; implicit-def: $vgpr9
                                        ; implicit-def: $vgpr23
                                        ; implicit-def: $vgpr24
	s_and_saveexec_b32 s1, s0
	s_cbranch_execz .LBB0_17
; %bb.16:
	v_sub_nc_u32_e32 v4, 0, v8
	v_add_nc_u32_e32 v5, 0x900, v16
	v_add_nc_u32_e32 v8, 0xe00, v16
	;; [unrolled: 1-line block ×3, first 2 shown]
	ds_read2_b32 v[6:7], v5 offset0:36 offset1:198
	ds_read2_b32 v[8:9], v8 offset0:40 offset1:202
	ds_read_b32 v19, v1
	ds_read2_b32 v[4:5], v26 offset0:32 offset1:194
	ds_read_u16 v21, v16 offset:1802
	s_waitcnt lgkmcnt(4)
	v_lshrrev_b32_e32 v24, 16, v6
	v_lshrrev_b32_e32 v22, 16, v7
	s_waitcnt lgkmcnt(3)
	v_lshrrev_b32_e32 v23, 16, v8
	v_lshrrev_b32_e32 v25, 16, v9
	s_waitcnt lgkmcnt(2)
	v_lshrrev_b32_e32 v20, 16, v19
	s_waitcnt lgkmcnt(1)
	v_lshrrev_b32_e32 v18, 16, v4
.LBB0_17:
	s_or_b32 exec_lo, exec_lo, s1
	v_mul_u32_u24_e32 v1, 6, v0
	s_waitcnt lgkmcnt(1)
	v_lshrrev_b32_e32 v34, 16, v13
	v_lshrrev_b32_e32 v37, 16, v11
	;; [unrolled: 1-line block ×4, first 2 shown]
	v_lshlrev_b32_e32 v1, 2, v1
	v_lshrrev_b32_e32 v36, 16, v15
	v_add_nc_u32_e32 v39, 0xa00, v16
	s_clause 0x1
	global_load_dwordx4 v[28:31], v1, s[8:9] offset:640
	global_load_dwordx2 v[32:33], v1, s[8:9] offset:656
	s_waitcnt lgkmcnt(0)
	v_lshrrev_b32_e32 v1, 16, v27
	s_waitcnt vmcnt(0)
	s_barrier
	buffer_gl0_inv
	v_mul_f16_sdwa v40, v28, v37 dst_sel:DWORD dst_unused:UNUSED_PAD src0_sel:WORD_1 src1_sel:DWORD
	v_mul_f16_sdwa v41, v28, v11 dst_sel:DWORD dst_unused:UNUSED_PAD src0_sel:WORD_1 src1_sel:DWORD
	;; [unrolled: 1-line block ×12, first 2 shown]
	v_fmac_f16_e32 v40, v28, v11
	v_fma_f16 v11, v28, v37, -v41
	v_fmac_f16_e32 v42, v29, v14
	v_fma_f16 v14, v29, v38, -v43
	;; [unrolled: 2-line block ×6, first 2 shown]
	v_add_f16_e32 v27, v40, v50
	v_add_f16_e32 v28, v11, v1
	v_sub_f16_e32 v1, v11, v1
	v_add_f16_e32 v11, v42, v48
	v_add_f16_e32 v30, v14, v13
	v_sub_f16_e32 v31, v42, v48
	v_sub_f16_e32 v13, v14, v13
	v_add_f16_e32 v14, v44, v46
	v_add_f16_e32 v32, v15, v12
	v_sub_f16_e32 v33, v46, v44
	;; [unrolled: 4-line block ×3, first 2 shown]
	v_sub_f16_e32 v35, v11, v27
	v_sub_f16_e32 v36, v30, v28
	;; [unrolled: 1-line block ×6, first 2 shown]
	v_add_f16_e32 v37, v33, v31
	v_add_f16_e32 v38, v12, v13
	v_sub_f16_e32 v40, v33, v31
	v_sub_f16_e32 v41, v12, v13
	v_sub_f16_e32 v13, v13, v1
	v_add_f16_e32 v14, v14, v15
	v_add_f16_e32 v15, v32, v34
	v_sub_f16_e32 v31, v31, v29
	v_sub_f16_e32 v33, v29, v33
	;; [unrolled: 1-line block ×3, first 2 shown]
	v_add_f16_e32 v29, v37, v29
	v_add_f16_e32 v1, v38, v1
	v_mul_f16_e32 v27, 0x3a52, v27
	v_mul_f16_e32 v28, 0x3a52, v28
	;; [unrolled: 1-line block ×7, first 2 shown]
	v_add_f16_e32 v42, v14, v10
	v_add_f16_sdwa v10, v15, v10 dst_sel:DWORD dst_unused:UNUSED_PAD src0_sel:DWORD src1_sel:WORD_1
	v_mul_f16_e32 v40, 0xbb00, v31
	v_fmamk_f16 v11, v11, 0x2b26, v27
	v_fmamk_f16 v30, v30, 0x2b26, v28
	v_fma_f16 v32, v35, 0x39e0, -v32
	v_fma_f16 v34, v36, 0x39e0, -v34
	;; [unrolled: 1-line block ×4, first 2 shown]
	v_fmamk_f16 v35, v33, 0xb574, v37
	v_fmamk_f16 v36, v12, 0xb574, v38
	v_fma_f16 v13, v13, 0xbb00, -v38
	v_fma_f16 v12, v12, 0x3574, -v41
	v_fmamk_f16 v14, v14, 0xbcab, v42
	v_fmamk_f16 v15, v15, 0xbcab, v10
	v_fma_f16 v31, v31, 0xbb00, -v37
	v_fma_f16 v33, v33, 0x3574, -v40
	v_fmac_f16_e32 v35, 0xb70e, v29
	v_fmac_f16_e32 v36, 0xb70e, v1
	v_fmac_f16_e32 v13, 0xb70e, v1
	v_fmac_f16_e32 v12, 0xb70e, v1
	v_pack_b32_f16 v1, v42, v10
	v_add_f16_e32 v10, v11, v14
	v_add_f16_e32 v11, v30, v15
	v_fmac_f16_e32 v31, 0xb70e, v29
	v_fmac_f16_e32 v33, 0xb70e, v29
	v_add_f16_e32 v29, v32, v14
	v_add_f16_e32 v14, v27, v14
	;; [unrolled: 1-line block ×5, first 2 shown]
	v_sub_f16_e32 v30, v11, v35
	v_add_f16_e32 v32, v12, v14
	v_sub_f16_e32 v34, v27, v33
	v_sub_f16_e32 v37, v29, v13
	v_add_f16_e32 v38, v31, v15
	v_add_f16_e32 v13, v13, v29
	v_sub_f16_e32 v15, v15, v31
	v_sub_f16_e32 v12, v14, v12
	v_add_f16_e32 v14, v33, v27
	v_sub_f16_e32 v10, v10, v36
	v_add_f16_e32 v11, v35, v11
	v_pack_b32_f16 v27, v28, v30
	v_pack_b32_f16 v28, v32, v34
	;; [unrolled: 1-line block ×6, first 2 shown]
	ds_write2_b32 v16, v1, v27 offset1:162
	ds_write2_b32 v26, v28, v29 offset0:68 offset1:230
	ds_write2_b32 v39, v13, v12 offset0:8 offset1:170
	ds_write_b32 v16, v10 offset:3888
	s_and_saveexec_b32 s1, s0
	s_cbranch_execz .LBB0_19
; %bb.18:
	v_subrev_nc_u32_e32 v1, 36, v0
	v_mov_b32_e32 v11, 0
	v_add_nc_u32_e32 v26, 0xc00, v16
	v_cndmask_b32_e64 v1, v1, v17, s0
	v_add_nc_u32_e32 v17, 0x600, v16
	v_mul_i32_i24_e32 v10, 6, v1
	v_add_nc_u32_e32 v1, 0x100, v16
	v_lshlrev_b64 v[10:11], 2, v[10:11]
	v_add_co_u32 v14, s0, s8, v10
	v_add_co_ci_u32_e64 v15, s0, s9, v11, s0
	s_clause 0x1
	global_load_dwordx4 v[10:13], v[14:15], off offset:640
	global_load_dwordx2 v[14:15], v[14:15], off offset:656
	s_waitcnt vmcnt(1)
	v_mul_f16_sdwa v27, v18, v10 dst_sel:DWORD dst_unused:UNUSED_PAD src0_sel:DWORD src1_sel:WORD_1
	s_waitcnt vmcnt(0)
	v_mul_f16_sdwa v28, v25, v15 dst_sel:DWORD dst_unused:UNUSED_PAD src0_sel:DWORD src1_sel:WORD_1
	v_mul_f16_sdwa v31, v21, v11 dst_sel:DWORD dst_unused:UNUSED_PAD src0_sel:DWORD src1_sel:WORD_1
	v_mul_f16_sdwa v32, v23, v14 dst_sel:DWORD dst_unused:UNUSED_PAD src0_sel:DWORD src1_sel:WORD_1
	v_mul_f16_sdwa v33, v9, v15 dst_sel:DWORD dst_unused:UNUSED_PAD src0_sel:DWORD src1_sel:WORD_1
	v_mul_f16_sdwa v34, v4, v10 dst_sel:DWORD dst_unused:UNUSED_PAD src0_sel:DWORD src1_sel:WORD_1
	v_mul_f16_sdwa v37, v8, v14 dst_sel:DWORD dst_unused:UNUSED_PAD src0_sel:DWORD src1_sel:WORD_1
	v_mul_f16_sdwa v38, v5, v11 dst_sel:DWORD dst_unused:UNUSED_PAD src0_sel:DWORD src1_sel:WORD_1
	v_mul_f16_sdwa v29, v22, v13 dst_sel:DWORD dst_unused:UNUSED_PAD src0_sel:DWORD src1_sel:WORD_1
	v_mul_f16_sdwa v30, v24, v12 dst_sel:DWORD dst_unused:UNUSED_PAD src0_sel:DWORD src1_sel:WORD_1
	v_mul_f16_sdwa v35, v6, v12 dst_sel:DWORD dst_unused:UNUSED_PAD src0_sel:DWORD src1_sel:WORD_1
	v_mul_f16_sdwa v36, v7, v13 dst_sel:DWORD dst_unused:UNUSED_PAD src0_sel:DWORD src1_sel:WORD_1
	v_fmac_f16_e32 v27, v4, v10
	v_fmac_f16_e32 v28, v9, v15
	v_fmac_f16_e32 v31, v5, v11
	v_fmac_f16_e32 v32, v8, v14
	v_fma_f16 v4, v25, v15, -v33
	v_fma_f16 v5, v18, v10, -v34
	;; [unrolled: 1-line block ×4, first 2 shown]
	v_fmac_f16_e32 v29, v7, v13
	v_fmac_f16_e32 v30, v6, v12
	v_fma_f16 v6, v24, v12, -v35
	v_fma_f16 v7, v22, v13, -v36
	v_add_f16_e32 v13, v5, v4
	v_add_f16_e32 v15, v9, v8
	;; [unrolled: 1-line block ×4, first 2 shown]
	v_sub_f16_e32 v10, v27, v28
	v_sub_f16_e32 v11, v29, v30
	;; [unrolled: 1-line block ×3, first 2 shown]
	v_add_f16_e32 v14, v6, v7
	v_add_f16_e32 v21, v30, v29
	v_sub_f16_e32 v4, v5, v4
	v_sub_f16_e32 v5, v7, v6
	;; [unrolled: 1-line block ×3, first 2 shown]
	v_add_f16_e32 v24, v15, v13
	v_add_f16_e32 v28, v22, v18
	v_sub_f16_e32 v7, v10, v11
	v_sub_f16_e32 v8, v11, v12
	v_add_f16_e32 v9, v11, v12
	v_sub_f16_e32 v11, v13, v14
	v_sub_f16_e32 v23, v14, v15
	;; [unrolled: 1-line block ×6, first 2 shown]
	v_add_f16_e32 v5, v5, v6
	v_sub_f16_e32 v12, v12, v10
	v_add_f16_e32 v14, v14, v24
	v_add_f16_e32 v21, v21, v28
	v_sub_f16_e32 v6, v6, v4
	v_sub_f16_e32 v13, v15, v13
	;; [unrolled: 1-line block ×3, first 2 shown]
	v_mul_f16_e32 v8, 0x3846, v8
	v_add_f16_e32 v9, v9, v10
	v_mul_f16_e32 v10, 0x3a52, v11
	v_mul_f16_e32 v11, 0x2b26, v23
	;; [unrolled: 1-line block ×4, first 2 shown]
	v_add_f16_e32 v4, v5, v4
	v_mul_f16_e32 v5, 0xbb00, v12
	v_add_f16_e32 v20, v20, v14
	v_add_f16_e32 v19, v19, v21
	v_mul_f16_e32 v22, 0x2b26, v27
	v_mul_f16_e32 v25, 0xbb00, v6
	v_fmamk_f16 v28, v7, 0xb574, v8
	v_fmamk_f16 v23, v23, 0x2b26, v10
	v_fmamk_f16 v27, v27, 0x2b26, v18
	v_fmamk_f16 v30, v29, 0xb574, v24
	v_fma_f16 v5, v7, 0x3574, -v5
	v_fma_f16 v7, v13, 0xb9e0, -v10
	;; [unrolled: 1-line block ×4, first 2 shown]
	v_fmamk_f16 v13, v14, 0xbcab, v20
	v_fmamk_f16 v14, v21, 0xbcab, v19
	v_fma_f16 v10, v15, 0xb9e0, -v18
	v_fma_f16 v18, v29, 0x3574, -v25
	;; [unrolled: 1-line block ×4, first 2 shown]
	v_fmac_f16_e32 v28, 0xb70e, v9
	v_fmac_f16_e32 v30, 0xb70e, v4
	;; [unrolled: 1-line block ×4, first 2 shown]
	v_add_f16_e32 v9, v23, v13
	v_add_f16_e32 v15, v27, v14
	;; [unrolled: 1-line block ×3, first 2 shown]
	v_fmac_f16_e32 v18, 0xb70e, v4
	v_fmac_f16_e32 v6, 0xb70e, v4
	v_add_f16_e32 v10, v10, v14
	v_add_f16_e32 v11, v11, v13
	v_add_f16_e32 v12, v12, v14
	v_pack_b32_f16 v4, v19, v20
	v_add_f16_e32 v13, v28, v9
	v_add_f16_e32 v19, v5, v7
	v_sub_f16_e32 v5, v7, v5
	v_sub_f16_e32 v7, v9, v28
	v_add_f16_e32 v9, v30, v15
	v_sub_f16_e32 v14, v15, v30
	v_sub_f16_e32 v20, v11, v8
	v_add_f16_e32 v8, v8, v11
	v_add_f16_e32 v11, v18, v10
	v_sub_f16_e32 v15, v12, v6
	v_add_f16_e32 v6, v6, v12
	v_sub_f16_e32 v10, v10, v18
	v_pack_b32_f16 v7, v9, v7
	v_pack_b32_f16 v5, v11, v5
	;; [unrolled: 1-line block ×6, first 2 shown]
	ds_write2_b32 v1, v4, v7 offset0:62 offset1:224
	ds_write2_b32 v17, v5, v8 offset0:66 offset1:228
	;; [unrolled: 1-line block ×3, first 2 shown]
	ds_write_b32 v16, v10 offset:4392
.LBB0_19:
	s_or_b32 exec_lo, exec_lo, s1
	s_waitcnt lgkmcnt(0)
	s_barrier
	buffer_gl0_inv
	s_and_saveexec_b32 s0, vcc_lo
	s_cbranch_execz .LBB0_21
; %bb.20:
	v_add_nc_u32_e32 v6, 0x200, v16
	v_add_nc_u32_e32 v8, 0x600, v16
	v_add_nc_u32_e32 v10, 0xa00, v16
	ds_read2_b32 v[4:5], v16 offset1:126
	v_mov_b32_e32 v1, 0
	ds_read2_b32 v[6:7], v6 offset0:124 offset1:250
	ds_read2_b32 v[8:9], v8 offset0:120 offset1:246
	;; [unrolled: 1-line block ×3, first 2 shown]
	ds_read_b32 v12, v16 offset:4032
	v_add_co_u32 v2, vcc_lo, s2, v2
	v_add_co_ci_u32_e32 v3, vcc_lo, s3, v3, vcc_lo
	v_lshlrev_b64 v[0:1], 2, v[0:1]
	v_add_co_u32 v0, vcc_lo, v2, v0
	v_add_co_ci_u32_e32 v1, vcc_lo, v3, v1, vcc_lo
	v_add_co_u32 v2, vcc_lo, 0x800, v0
	v_add_co_ci_u32_e32 v3, vcc_lo, 0, v1, vcc_lo
	s_waitcnt lgkmcnt(4)
	global_store_dword v[0:1], v4, off
	global_store_dword v[0:1], v5, off offset:504
	s_waitcnt lgkmcnt(3)
	global_store_dword v[0:1], v6, off offset:1008
	global_store_dword v[0:1], v7, off offset:1512
	s_waitcnt lgkmcnt(2)
	global_store_dword v[0:1], v8, off offset:2016
	;; [unrolled: 3-line block ×4, first 2 shown]
.LBB0_21:
	s_endpgm
	.section	.rodata,"a",@progbits
	.p2align	6, 0x0
	.amdhsa_kernel fft_rtc_back_len1134_factors_2_3_3_3_3_7_wgs_126_tpt_126_half_ip_CI_unitstride_sbrr_dirReg
		.amdhsa_group_segment_fixed_size 0
		.amdhsa_private_segment_fixed_size 0
		.amdhsa_kernarg_size 88
		.amdhsa_user_sgpr_count 6
		.amdhsa_user_sgpr_private_segment_buffer 1
		.amdhsa_user_sgpr_dispatch_ptr 0
		.amdhsa_user_sgpr_queue_ptr 0
		.amdhsa_user_sgpr_kernarg_segment_ptr 1
		.amdhsa_user_sgpr_dispatch_id 0
		.amdhsa_user_sgpr_flat_scratch_init 0
		.amdhsa_user_sgpr_private_segment_size 0
		.amdhsa_wavefront_size32 1
		.amdhsa_uses_dynamic_stack 0
		.amdhsa_system_sgpr_private_segment_wavefront_offset 0
		.amdhsa_system_sgpr_workgroup_id_x 1
		.amdhsa_system_sgpr_workgroup_id_y 0
		.amdhsa_system_sgpr_workgroup_id_z 0
		.amdhsa_system_sgpr_workgroup_info 0
		.amdhsa_system_vgpr_workitem_id 0
		.amdhsa_next_free_vgpr 60
		.amdhsa_next_free_sgpr 21
		.amdhsa_reserve_vcc 1
		.amdhsa_reserve_flat_scratch 0
		.amdhsa_float_round_mode_32 0
		.amdhsa_float_round_mode_16_64 0
		.amdhsa_float_denorm_mode_32 3
		.amdhsa_float_denorm_mode_16_64 3
		.amdhsa_dx10_clamp 1
		.amdhsa_ieee_mode 1
		.amdhsa_fp16_overflow 0
		.amdhsa_workgroup_processor_mode 1
		.amdhsa_memory_ordered 1
		.amdhsa_forward_progress 0
		.amdhsa_shared_vgpr_count 0
		.amdhsa_exception_fp_ieee_invalid_op 0
		.amdhsa_exception_fp_denorm_src 0
		.amdhsa_exception_fp_ieee_div_zero 0
		.amdhsa_exception_fp_ieee_overflow 0
		.amdhsa_exception_fp_ieee_underflow 0
		.amdhsa_exception_fp_ieee_inexact 0
		.amdhsa_exception_int_div_zero 0
	.end_amdhsa_kernel
	.text
.Lfunc_end0:
	.size	fft_rtc_back_len1134_factors_2_3_3_3_3_7_wgs_126_tpt_126_half_ip_CI_unitstride_sbrr_dirReg, .Lfunc_end0-fft_rtc_back_len1134_factors_2_3_3_3_3_7_wgs_126_tpt_126_half_ip_CI_unitstride_sbrr_dirReg
                                        ; -- End function
	.section	.AMDGPU.csdata,"",@progbits
; Kernel info:
; codeLenInByte = 7192
; NumSgprs: 23
; NumVgprs: 60
; ScratchSize: 0
; MemoryBound: 0
; FloatMode: 240
; IeeeMode: 1
; LDSByteSize: 0 bytes/workgroup (compile time only)
; SGPRBlocks: 2
; VGPRBlocks: 7
; NumSGPRsForWavesPerEU: 23
; NumVGPRsForWavesPerEU: 60
; Occupancy: 16
; WaveLimiterHint : 1
; COMPUTE_PGM_RSRC2:SCRATCH_EN: 0
; COMPUTE_PGM_RSRC2:USER_SGPR: 6
; COMPUTE_PGM_RSRC2:TRAP_HANDLER: 0
; COMPUTE_PGM_RSRC2:TGID_X_EN: 1
; COMPUTE_PGM_RSRC2:TGID_Y_EN: 0
; COMPUTE_PGM_RSRC2:TGID_Z_EN: 0
; COMPUTE_PGM_RSRC2:TIDIG_COMP_CNT: 0
	.text
	.p2alignl 6, 3214868480
	.fill 48, 4, 3214868480
	.type	__hip_cuid_a5969107b9038c16,@object ; @__hip_cuid_a5969107b9038c16
	.section	.bss,"aw",@nobits
	.globl	__hip_cuid_a5969107b9038c16
__hip_cuid_a5969107b9038c16:
	.byte	0                               ; 0x0
	.size	__hip_cuid_a5969107b9038c16, 1

	.ident	"AMD clang version 19.0.0git (https://github.com/RadeonOpenCompute/llvm-project roc-6.4.0 25133 c7fe45cf4b819c5991fe208aaa96edf142730f1d)"
	.section	".note.GNU-stack","",@progbits
	.addrsig
	.addrsig_sym __hip_cuid_a5969107b9038c16
	.amdgpu_metadata
---
amdhsa.kernels:
  - .args:
      - .actual_access:  read_only
        .address_space:  global
        .offset:         0
        .size:           8
        .value_kind:     global_buffer
      - .offset:         8
        .size:           8
        .value_kind:     by_value
      - .actual_access:  read_only
        .address_space:  global
        .offset:         16
        .size:           8
        .value_kind:     global_buffer
      - .actual_access:  read_only
        .address_space:  global
        .offset:         24
        .size:           8
        .value_kind:     global_buffer
      - .offset:         32
        .size:           8
        .value_kind:     by_value
      - .actual_access:  read_only
        .address_space:  global
        .offset:         40
        .size:           8
        .value_kind:     global_buffer
      - .actual_access:  read_only
        .address_space:  global
        .offset:         48
        .size:           8
        .value_kind:     global_buffer
      - .offset:         56
        .size:           4
        .value_kind:     by_value
      - .actual_access:  read_only
        .address_space:  global
        .offset:         64
        .size:           8
        .value_kind:     global_buffer
      - .actual_access:  read_only
        .address_space:  global
        .offset:         72
        .size:           8
        .value_kind:     global_buffer
      - .address_space:  global
        .offset:         80
        .size:           8
        .value_kind:     global_buffer
    .group_segment_fixed_size: 0
    .kernarg_segment_align: 8
    .kernarg_segment_size: 88
    .language:       OpenCL C
    .language_version:
      - 2
      - 0
    .max_flat_workgroup_size: 126
    .name:           fft_rtc_back_len1134_factors_2_3_3_3_3_7_wgs_126_tpt_126_half_ip_CI_unitstride_sbrr_dirReg
    .private_segment_fixed_size: 0
    .sgpr_count:     23
    .sgpr_spill_count: 0
    .symbol:         fft_rtc_back_len1134_factors_2_3_3_3_3_7_wgs_126_tpt_126_half_ip_CI_unitstride_sbrr_dirReg.kd
    .uniform_work_group_size: 1
    .uses_dynamic_stack: false
    .vgpr_count:     60
    .vgpr_spill_count: 0
    .wavefront_size: 32
    .workgroup_processor_mode: 1
amdhsa.target:   amdgcn-amd-amdhsa--gfx1030
amdhsa.version:
  - 1
  - 2
...

	.end_amdgpu_metadata
